;; amdgpu-corpus repo=ROCm/rocFFT kind=compiled arch=gfx906 opt=O3
	.text
	.amdgcn_target "amdgcn-amd-amdhsa--gfx906"
	.amdhsa_code_object_version 6
	.protected	fft_rtc_back_len1176_factors_2_2_2_3_7_7_wgs_56_tpt_56_halfLds_sp_ip_CI_unitstride_sbrr_dirReg ; -- Begin function fft_rtc_back_len1176_factors_2_2_2_3_7_7_wgs_56_tpt_56_halfLds_sp_ip_CI_unitstride_sbrr_dirReg
	.globl	fft_rtc_back_len1176_factors_2_2_2_3_7_7_wgs_56_tpt_56_halfLds_sp_ip_CI_unitstride_sbrr_dirReg
	.p2align	8
	.type	fft_rtc_back_len1176_factors_2_2_2_3_7_7_wgs_56_tpt_56_halfLds_sp_ip_CI_unitstride_sbrr_dirReg,@function
fft_rtc_back_len1176_factors_2_2_2_3_7_7_wgs_56_tpt_56_halfLds_sp_ip_CI_unitstride_sbrr_dirReg: ; @fft_rtc_back_len1176_factors_2_2_2_3_7_7_wgs_56_tpt_56_halfLds_sp_ip_CI_unitstride_sbrr_dirReg
; %bb.0:
	s_load_dwordx2 s[2:3], s[4:5], 0x50
	s_load_dwordx4 s[8:11], s[4:5], 0x0
	s_load_dwordx2 s[12:13], s[4:5], 0x18
	v_mul_u32_u24_e32 v1, 0x493, v0
	v_add_u32_sdwa v5, s6, v1 dst_sel:DWORD dst_unused:UNUSED_PAD src0_sel:DWORD src1_sel:WORD_1
	v_mov_b32_e32 v3, 0
	s_waitcnt lgkmcnt(0)
	v_cmp_lt_u64_e64 s[0:1], s[10:11], 2
	v_mov_b32_e32 v1, 0
	v_mov_b32_e32 v6, v3
	s_and_b64 vcc, exec, s[0:1]
	v_mov_b32_e32 v2, 0
	s_cbranch_vccnz .LBB0_8
; %bb.1:
	s_load_dwordx2 s[0:1], s[4:5], 0x10
	s_add_u32 s6, s12, 8
	s_addc_u32 s7, s13, 0
	v_mov_b32_e32 v1, 0
	v_mov_b32_e32 v2, 0
	s_waitcnt lgkmcnt(0)
	s_add_u32 s14, s0, 8
	s_addc_u32 s15, s1, 0
	s_mov_b64 s[16:17], 1
.LBB0_2:                                ; =>This Inner Loop Header: Depth=1
	s_load_dwordx2 s[18:19], s[14:15], 0x0
                                        ; implicit-def: $vgpr7_vgpr8
	s_waitcnt lgkmcnt(0)
	v_or_b32_e32 v4, s19, v6
	v_cmp_ne_u64_e32 vcc, 0, v[3:4]
	s_and_saveexec_b64 s[0:1], vcc
	s_xor_b64 s[20:21], exec, s[0:1]
	s_cbranch_execz .LBB0_4
; %bb.3:                                ;   in Loop: Header=BB0_2 Depth=1
	v_cvt_f32_u32_e32 v4, s18
	v_cvt_f32_u32_e32 v7, s19
	s_sub_u32 s0, 0, s18
	s_subb_u32 s1, 0, s19
	v_mac_f32_e32 v4, 0x4f800000, v7
	v_rcp_f32_e32 v4, v4
	v_mul_f32_e32 v4, 0x5f7ffffc, v4
	v_mul_f32_e32 v7, 0x2f800000, v4
	v_trunc_f32_e32 v7, v7
	v_mac_f32_e32 v4, 0xcf800000, v7
	v_cvt_u32_f32_e32 v7, v7
	v_cvt_u32_f32_e32 v4, v4
	v_mul_lo_u32 v8, s0, v7
	v_mul_hi_u32 v9, s0, v4
	v_mul_lo_u32 v11, s1, v4
	v_mul_lo_u32 v10, s0, v4
	v_add_u32_e32 v8, v9, v8
	v_add_u32_e32 v8, v8, v11
	v_mul_hi_u32 v9, v4, v10
	v_mul_lo_u32 v11, v4, v8
	v_mul_hi_u32 v13, v4, v8
	v_mul_hi_u32 v12, v7, v10
	v_mul_lo_u32 v10, v7, v10
	v_mul_hi_u32 v14, v7, v8
	v_add_co_u32_e32 v9, vcc, v9, v11
	v_addc_co_u32_e32 v11, vcc, 0, v13, vcc
	v_mul_lo_u32 v8, v7, v8
	v_add_co_u32_e32 v9, vcc, v9, v10
	v_addc_co_u32_e32 v9, vcc, v11, v12, vcc
	v_addc_co_u32_e32 v10, vcc, 0, v14, vcc
	v_add_co_u32_e32 v8, vcc, v9, v8
	v_addc_co_u32_e32 v9, vcc, 0, v10, vcc
	v_add_co_u32_e32 v4, vcc, v4, v8
	v_addc_co_u32_e32 v7, vcc, v7, v9, vcc
	v_mul_lo_u32 v8, s0, v7
	v_mul_hi_u32 v9, s0, v4
	v_mul_lo_u32 v10, s1, v4
	v_mul_lo_u32 v11, s0, v4
	v_add_u32_e32 v8, v9, v8
	v_add_u32_e32 v8, v8, v10
	v_mul_lo_u32 v12, v4, v8
	v_mul_hi_u32 v13, v4, v11
	v_mul_hi_u32 v14, v4, v8
	;; [unrolled: 1-line block ×3, first 2 shown]
	v_mul_lo_u32 v11, v7, v11
	v_mul_hi_u32 v9, v7, v8
	v_add_co_u32_e32 v12, vcc, v13, v12
	v_addc_co_u32_e32 v13, vcc, 0, v14, vcc
	v_mul_lo_u32 v8, v7, v8
	v_add_co_u32_e32 v11, vcc, v12, v11
	v_addc_co_u32_e32 v10, vcc, v13, v10, vcc
	v_addc_co_u32_e32 v9, vcc, 0, v9, vcc
	v_add_co_u32_e32 v8, vcc, v10, v8
	v_addc_co_u32_e32 v9, vcc, 0, v9, vcc
	v_add_co_u32_e32 v4, vcc, v4, v8
	v_addc_co_u32_e32 v9, vcc, v7, v9, vcc
	v_mad_u64_u32 v[7:8], s[0:1], v5, v9, 0
	v_mul_hi_u32 v10, v5, v4
	v_add_co_u32_e32 v11, vcc, v10, v7
	v_addc_co_u32_e32 v12, vcc, 0, v8, vcc
	v_mad_u64_u32 v[7:8], s[0:1], v6, v4, 0
	v_mad_u64_u32 v[9:10], s[0:1], v6, v9, 0
	v_add_co_u32_e32 v4, vcc, v11, v7
	v_addc_co_u32_e32 v4, vcc, v12, v8, vcc
	v_addc_co_u32_e32 v7, vcc, 0, v10, vcc
	v_add_co_u32_e32 v4, vcc, v4, v9
	v_addc_co_u32_e32 v9, vcc, 0, v7, vcc
	v_mul_lo_u32 v10, s19, v4
	v_mul_lo_u32 v11, s18, v9
	v_mad_u64_u32 v[7:8], s[0:1], s18, v4, 0
	v_add3_u32 v8, v8, v11, v10
	v_sub_u32_e32 v10, v6, v8
	v_mov_b32_e32 v11, s19
	v_sub_co_u32_e32 v7, vcc, v5, v7
	v_subb_co_u32_e64 v10, s[0:1], v10, v11, vcc
	v_subrev_co_u32_e64 v11, s[0:1], s18, v7
	v_subbrev_co_u32_e64 v10, s[0:1], 0, v10, s[0:1]
	v_cmp_le_u32_e64 s[0:1], s19, v10
	v_cndmask_b32_e64 v12, 0, -1, s[0:1]
	v_cmp_le_u32_e64 s[0:1], s18, v11
	v_cndmask_b32_e64 v11, 0, -1, s[0:1]
	v_cmp_eq_u32_e64 s[0:1], s19, v10
	v_cndmask_b32_e64 v10, v12, v11, s[0:1]
	v_add_co_u32_e64 v11, s[0:1], 2, v4
	v_addc_co_u32_e64 v12, s[0:1], 0, v9, s[0:1]
	v_add_co_u32_e64 v13, s[0:1], 1, v4
	v_addc_co_u32_e64 v14, s[0:1], 0, v9, s[0:1]
	v_subb_co_u32_e32 v8, vcc, v6, v8, vcc
	v_cmp_ne_u32_e64 s[0:1], 0, v10
	v_cmp_le_u32_e32 vcc, s19, v8
	v_cndmask_b32_e64 v10, v14, v12, s[0:1]
	v_cndmask_b32_e64 v12, 0, -1, vcc
	v_cmp_le_u32_e32 vcc, s18, v7
	v_cndmask_b32_e64 v7, 0, -1, vcc
	v_cmp_eq_u32_e32 vcc, s19, v8
	v_cndmask_b32_e32 v7, v12, v7, vcc
	v_cmp_ne_u32_e32 vcc, 0, v7
	v_cndmask_b32_e64 v7, v13, v11, s[0:1]
	v_cndmask_b32_e32 v8, v9, v10, vcc
	v_cndmask_b32_e32 v7, v4, v7, vcc
.LBB0_4:                                ;   in Loop: Header=BB0_2 Depth=1
	s_andn2_saveexec_b64 s[0:1], s[20:21]
	s_cbranch_execz .LBB0_6
; %bb.5:                                ;   in Loop: Header=BB0_2 Depth=1
	v_cvt_f32_u32_e32 v4, s18
	s_sub_i32 s20, 0, s18
	v_rcp_iflag_f32_e32 v4, v4
	v_mul_f32_e32 v4, 0x4f7ffffe, v4
	v_cvt_u32_f32_e32 v4, v4
	v_mul_lo_u32 v7, s20, v4
	v_mul_hi_u32 v7, v4, v7
	v_add_u32_e32 v4, v4, v7
	v_mul_hi_u32 v4, v5, v4
	v_mul_lo_u32 v7, v4, s18
	v_add_u32_e32 v8, 1, v4
	v_sub_u32_e32 v7, v5, v7
	v_subrev_u32_e32 v9, s18, v7
	v_cmp_le_u32_e32 vcc, s18, v7
	v_cndmask_b32_e32 v7, v7, v9, vcc
	v_cndmask_b32_e32 v4, v4, v8, vcc
	v_add_u32_e32 v8, 1, v4
	v_cmp_le_u32_e32 vcc, s18, v7
	v_cndmask_b32_e32 v7, v4, v8, vcc
	v_mov_b32_e32 v8, v3
.LBB0_6:                                ;   in Loop: Header=BB0_2 Depth=1
	s_or_b64 exec, exec, s[0:1]
	v_mul_lo_u32 v4, v8, s18
	v_mul_lo_u32 v11, v7, s19
	v_mad_u64_u32 v[9:10], s[0:1], v7, s18, 0
	s_load_dwordx2 s[0:1], s[6:7], 0x0
	s_add_u32 s16, s16, 1
	v_add3_u32 v4, v10, v11, v4
	v_sub_co_u32_e32 v5, vcc, v5, v9
	v_subb_co_u32_e32 v4, vcc, v6, v4, vcc
	s_waitcnt lgkmcnt(0)
	v_mul_lo_u32 v4, s0, v4
	v_mul_lo_u32 v6, s1, v5
	v_mad_u64_u32 v[1:2], s[0:1], s0, v5, v[1:2]
	s_addc_u32 s17, s17, 0
	s_add_u32 s6, s6, 8
	v_add3_u32 v2, v6, v2, v4
	v_mov_b32_e32 v4, s10
	v_mov_b32_e32 v5, s11
	s_addc_u32 s7, s7, 0
	v_cmp_ge_u64_e32 vcc, s[16:17], v[4:5]
	s_add_u32 s14, s14, 8
	s_addc_u32 s15, s15, 0
	s_cbranch_vccnz .LBB0_9
; %bb.7:                                ;   in Loop: Header=BB0_2 Depth=1
	v_mov_b32_e32 v5, v7
	v_mov_b32_e32 v6, v8
	s_branch .LBB0_2
.LBB0_8:
	v_mov_b32_e32 v8, v6
	v_mov_b32_e32 v7, v5
.LBB0_9:
	s_lshl_b64 s[0:1], s[10:11], 3
	s_add_u32 s0, s12, s0
	s_addc_u32 s1, s13, s1
	s_load_dwordx2 s[6:7], s[0:1], 0x0
	s_load_dwordx2 s[10:11], s[4:5], 0x20
                                        ; implicit-def: $vgpr79
	s_waitcnt lgkmcnt(0)
	v_mad_u64_u32 v[1:2], s[0:1], s6, v7, v[1:2]
	s_mov_b32 s0, 0x4924925
	v_mul_lo_u32 v3, s6, v8
	v_mul_lo_u32 v4, s7, v7
	v_mul_hi_u32 v5, v0, s0
	v_cmp_gt_u64_e64 s[0:1], s[10:11], v[7:8]
	v_cmp_le_u64_e32 vcc, s[10:11], v[7:8]
	v_add3_u32 v2, v4, v2, v3
	v_mul_u32_u24_e32 v3, 56, v5
	v_sub_u32_e32 v0, v0, v3
                                        ; implicit-def: $sgpr6
	s_and_saveexec_b64 s[4:5], vcc
	s_xor_b64 s[4:5], exec, s[4:5]
; %bb.10:
	v_or_b32_e32 v79, 0x1c0, v0
	s_mov_b32 s6, 0
; %bb.11:
	s_or_saveexec_b64 s[4:5], s[4:5]
	v_lshlrev_b64 v[2:3], 3, v[1:2]
	v_mov_b32_e32 v28, s6
	v_mov_b32_e32 v1, s6
                                        ; implicit-def: $vgpr20
                                        ; implicit-def: $vgpr32
                                        ; implicit-def: $vgpr22
                                        ; implicit-def: $vgpr24
                                        ; implicit-def: $vgpr26
                                        ; implicit-def: $vgpr16
                                        ; implicit-def: $vgpr30
                                        ; implicit-def: $vgpr18
                                        ; implicit-def: $vgpr48
                                        ; implicit-def: $vgpr34
                                        ; implicit-def: $vgpr50
                                        ; implicit-def: $vgpr52
                                        ; implicit-def: $vgpr36
                                        ; implicit-def: $vgpr54
                                        ; implicit-def: $vgpr56
                                        ; implicit-def: $vgpr58
                                        ; implicit-def: $vgpr42
                                        ; implicit-def: $vgpr44
                                        ; implicit-def: $vgpr46
                                        ; implicit-def: $vgpr38
                                        ; implicit-def: $vgpr40
	s_xor_b64 exec, exec, s[4:5]
	s_cbranch_execz .LBB0_15
; %bb.12:
	v_mov_b32_e32 v1, 0
	v_mov_b32_e32 v4, s3
	v_add_co_u32_e32 v6, vcc, s2, v2
	v_addc_co_u32_e32 v7, vcc, v4, v3, vcc
	v_lshlrev_b64 v[4:5], 3, v[0:1]
	v_mov_b32_e32 v28, v1
	v_add_co_u32_e32 v4, vcc, v6, v4
	v_addc_co_u32_e32 v5, vcc, v7, v5, vcc
	v_add_co_u32_e32 v6, vcc, 0x1000, v4
	v_addc_co_u32_e32 v7, vcc, 0, v5, vcc
	v_add_co_u32_e32 v8, vcc, 0x2000, v4
	global_load_dwordx2 v[39:40], v[6:7], off offset:1056
	global_load_dwordx2 v[37:38], v[6:7], off offset:1504
	;; [unrolled: 1-line block ×5, first 2 shown]
	v_addc_co_u32_e32 v9, vcc, 0, v5, vcc
	global_load_dwordx2 v[45:46], v[6:7], off offset:3296
	global_load_dwordx2 v[35:36], v[6:7], off offset:3744
	;; [unrolled: 1-line block ×4, first 2 shown]
	global_load_dwordx2 v[19:20], v[4:5], off
	global_load_dwordx2 v[21:22], v[4:5], off offset:448
	global_load_dwordx2 v[23:24], v[4:5], off offset:896
	;; [unrolled: 1-line block ×10, first 2 shown]
	v_cmp_gt_u32_e32 vcc, 28, v0
                                        ; implicit-def: $vgpr57
	s_and_saveexec_b64 s[6:7], vcc
	s_cbranch_execz .LBB0_14
; %bb.13:
	v_add_co_u32_e32 v6, vcc, 0x1000, v4
	v_addc_co_u32_e32 v7, vcc, 0, v5, vcc
	v_add_co_u32_e32 v4, vcc, 0x2000, v4
	v_addc_co_u32_e32 v5, vcc, 0, v5, vcc
	global_load_dwordx2 v[27:28], v[6:7], off offset:384
	global_load_dwordx2 v[57:58], v[4:5], off offset:992
	s_waitcnt vmcnt(1)
	v_mov_b32_e32 v1, v27
.LBB0_14:
	s_or_b64 exec, exec, s[6:7]
	v_or_b32_e32 v79, 0x1c0, v0
.LBB0_15:
	s_or_b64 exec, exec, s[4:5]
	s_waitcnt vmcnt(1)
	v_sub_f32_e32 v5, v19, v31
	v_fma_f32 v4, v19, 2.0, -v5
	v_lshl_add_u32 v19, v0, 3, 0
	v_sub_f32_e32 v60, v49, v45
	ds_write_b64 v19, v[4:5]
	v_sub_f32_e32 v5, v51, v35
	v_add_u32_e32 v45, 0x188, v0
	v_sub_f32_e32 v11, v25, v15
	v_sub_f32_e32 v15, v47, v33
	v_fma_f32 v4, v51, 2.0, -v5
	v_lshl_add_u32 v33, v45, 3, 0
	v_sub_f32_e32 v7, v21, v39
	v_sub_f32_e32 v9, v23, v37
	;; [unrolled: 1-line block ×3, first 2 shown]
	v_add_u32_e32 v68, 56, v0
	v_add_u32_e32 v67, 0x70, v0
	;; [unrolled: 1-line block ×6, first 2 shown]
	ds_write_b64 v33, v[4:5]
	v_sub_f32_e32 v5, v53, v43
	v_fma_f32 v6, v21, 2.0, -v7
	v_fma_f32 v8, v23, 2.0, -v9
	;; [unrolled: 1-line block ×6, first 2 shown]
	v_lshl_add_u32 v21, v68, 3, 0
	v_lshl_add_u32 v23, v67, 3, 0
	;; [unrolled: 1-line block ×6, first 2 shown]
	v_fma_f32 v4, v53, 2.0, -v5
	v_lshl_add_u32 v43, v79, 3, 0
	ds_write_b64 v21, v[6:7]
	ds_write_b64 v23, v[8:9]
	;; [unrolled: 1-line block ×7, first 2 shown]
	s_waitcnt vmcnt(0)
	v_sub_f32_e32 v5, v55, v41
	v_add_u32_e32 v41, 0x1f8, v0
	v_fma_f32 v4, v55, 2.0, -v5
	v_lshl_add_u32 v35, v41, 3, 0
	ds_write_b64 v35, v[4:5]
	v_sub_f32_e32 v5, v1, v57
	v_add_u32_e32 v37, 0x230, v0
	v_fma_f32 v4, v1, 2.0, -v5
	v_cmp_gt_u32_e32 vcc, 28, v0
	v_lshl_add_u32 v47, v37, 3, 0
	s_and_saveexec_b64 s[4:5], vcc
	s_cbranch_execz .LBB0_17
; %bb.16:
	ds_write_b64 v47, v[4:5]
.LBB0_17:
	s_or_b64 exec, exec, s[4:5]
	v_lshl_add_u32 v1, v0, 2, 0
	v_add_u32_e32 v6, 0x600, v1
	s_waitcnt lgkmcnt(0)
	; wave barrier
	s_waitcnt lgkmcnt(0)
	ds_read2_b32 v[14:15], v6 offset0:120 offset1:204
	v_add_u32_e32 v6, 0x800, v1
	v_add_u32_e32 v8, 0x200, v1
	;; [unrolled: 1-line block ×3, first 2 shown]
	v_lshlrev_b32_e32 v17, 2, v79
	ds_read2_b32 v[59:60], v1 offset1:56
	ds_read2_b32 v[12:13], v6 offset0:132 offset1:188
	ds_read2_b32 v[61:62], v1 offset0:112 offset1:168
	v_add_u32_e32 v6, 0xa00, v1
	ds_read2_b32 v[63:64], v8 offset0:96 offset1:152
	v_add_u32_e32 v8, 0xc00, v1
	;; [unrolled: 2-line block ×3, first 2 shown]
	v_sub_u32_e32 v39, v43, v17
	ds_read2_b32 v[6:7], v6 offset0:116 offset1:172
	ds_read2_b32 v[8:9], v8 offset0:100 offset1:156
	;; [unrolled: 1-line block ×3, first 2 shown]
	ds_read_b32 v39, v39
	ds_read_b32 v81, v1 offset:4368
	s_and_saveexec_b64 s[4:5], vcc
	s_cbranch_execz .LBB0_19
; %bb.18:
	ds_read_b32 v4, v1 offset:2240
	ds_read_b32 v5, v1 offset:4592
.LBB0_19:
	s_or_b64 exec, exec, s[4:5]
	v_sub_u32_e32 v49, 0, v17
	v_sub_f32_e32 v74, v20, v32
	v_sub_f32_e32 v17, v28, v58
	v_fma_f32 v73, v20, 2.0, -v74
	v_sub_f32_e32 v76, v22, v40
	v_sub_f32_e32 v78, v24, v38
	v_sub_f32_e32 v83, v26, v16
	v_sub_f32_e32 v85, v30, v18
	v_sub_f32_e32 v87, v48, v34
	v_sub_f32_e32 v51, v50, v46
	v_sub_f32_e32 v53, v52, v36
	v_sub_f32_e32 v55, v54, v44
	v_sub_f32_e32 v57, v56, v42
	v_fma_f32 v16, v28, 2.0, -v17
	v_fma_f32 v75, v22, 2.0, -v76
	;; [unrolled: 1-line block ×10, first 2 shown]
	s_waitcnt lgkmcnt(0)
	; wave barrier
	s_waitcnt lgkmcnt(0)
	ds_write_b64 v19, v[73:74]
	ds_write_b64 v21, v[75:76]
	;; [unrolled: 1-line block ×10, first 2 shown]
	s_and_saveexec_b64 s[4:5], vcc
	s_cbranch_execz .LBB0_21
; %bb.20:
	ds_write_b64 v47, v[16:17]
.LBB0_21:
	s_or_b64 exec, exec, s[4:5]
	v_add_u32_e32 v18, 0x600, v1
	v_add_u32_e32 v22, 0x800, v1
	;; [unrolled: 1-line block ×4, first 2 shown]
	s_waitcnt lgkmcnt(0)
	; wave barrier
	s_waitcnt lgkmcnt(0)
	ds_read2_b32 v[20:21], v1 offset1:56
	ds_read2_b32 v[18:19], v18 offset0:120 offset1:204
	ds_read2_b32 v[34:35], v22 offset0:132 offset1:188
	;; [unrolled: 1-line block ×4, first 2 shown]
	v_add_u32_e32 v24, 0x200, v1
	ds_read2_b32 v[30:31], v26 offset0:100 offset1:156
	v_add_u32_e32 v26, 0x400, v1
	v_add_u32_e32 v32, 0xe00, v1
	;; [unrolled: 1-line block ×3, first 2 shown]
	ds_read2_b32 v[24:25], v24 offset0:96 offset1:152
	ds_read2_b32 v[26:27], v26 offset0:80 offset1:136
	;; [unrolled: 1-line block ×3, first 2 shown]
	ds_read_b32 v84, v82
	ds_read_b32 v85, v1 offset:4368
	v_lshlrev_b32_e32 v57, 1, v0
	v_lshlrev_b32_e32 v58, 1, v68
	;; [unrolled: 1-line block ×10, first 2 shown]
	s_and_saveexec_b64 s[4:5], vcc
	s_cbranch_execz .LBB0_23
; %bb.22:
	ds_read_b32 v16, v1 offset:2240
	ds_read_b32 v17, v1 offset:4592
.LBB0_23:
	s_or_b64 exec, exec, s[4:5]
	v_and_b32_e32 v83, 1, v0
	v_lshlrev_b32_e32 v36, 3, v83
	global_load_dwordx2 v[46:47], v36, s[8:9]
	s_movk_i32 s4, 0x7c
	s_waitcnt lgkmcnt(0)
	; wave barrier
	s_waitcnt lgkmcnt(0)
	s_movk_i32 s5, 0x2fc
	s_waitcnt vmcnt(0)
	v_mul_f32_e32 v36, v19, v47
	v_mul_f32_e32 v50, v17, v47
	v_fmac_f32_e32 v36, v15, v46
	v_mul_f32_e32 v49, v85, v47
	v_fmac_f32_e32 v50, v5, v46
	v_fmac_f32_e32 v49, v81, v46
	v_sub_f32_e32 v36, v59, v36
	v_sub_f32_e32 v56, v4, v50
	v_mul_f32_e32 v42, v29, v47
	v_fma_f32 v51, v59, 2.0, -v36
	v_sub_f32_e32 v49, v14, v49
	v_fma_f32 v59, v4, 2.0, -v56
	v_and_or_b32 v4, v57, s4, v83
	s_movk_i32 s4, 0xfc
	v_mul_f32_e32 v38, v34, v47
	v_fmac_f32_e32 v42, v7, v46
	v_mul_f32_e32 v43, v30, v47
	v_fma_f32 v90, v14, 2.0, -v49
	v_lshl_add_u32 v4, v4, 2, 0
	v_and_or_b32 v14, v58, s4, v83
	s_movk_i32 s4, 0x1fc
	v_fmac_f32_e32 v38, v12, v46
	v_mul_f32_e32 v40, v35, v47
	v_fmac_f32_e32 v43, v8, v46
	v_mul_f32_e32 v44, v31, v47
	v_sub_f32_e32 v42, v63, v42
	ds_write2_b32 v4, v51, v36 offset1:2
	v_and_or_b32 v36, v73, s4, v83
	v_fmac_f32_e32 v40, v13, v46
	v_mul_f32_e32 v41, v28, v47
	v_fmac_f32_e32 v44, v9, v46
	v_mul_f32_e32 v45, v32, v47
	v_sub_f32_e32 v38, v60, v38
	v_fma_f32 v55, v63, 2.0, -v42
	v_sub_f32_e32 v43, v64, v43
	v_lshl_add_u32 v63, v36, 2, 0
	v_and_or_b32 v36, v74, s4, v83
	s_movk_i32 s4, 0x3fc
	v_fmac_f32_e32 v41, v6, v46
	v_fmac_f32_e32 v45, v10, v46
	v_fma_f32 v52, v60, 2.0, -v38
	v_sub_f32_e32 v40, v61, v40
	v_fma_f32 v60, v64, 2.0, -v43
	v_sub_f32_e32 v44, v65, v44
	v_lshl_add_u32 v64, v36, 2, 0
	v_and_or_b32 v36, v75, s4, v83
	v_fma_f32 v53, v61, 2.0, -v40
	v_sub_f32_e32 v41, v62, v41
	v_fma_f32 v61, v65, 2.0, -v44
	v_sub_f32_e32 v45, v66, v45
	v_lshl_add_u32 v65, v36, 2, 0
	v_and_or_b32 v36, v76, s5, v83
	v_fma_f32 v54, v62, 2.0, -v41
	v_fma_f32 v62, v66, 2.0, -v45
	v_lshl_add_u32 v66, v36, 2, 0
	v_and_or_b32 v36, v77, s4, v83
	v_mul_f32_e32 v48, v33, v47
	v_lshl_add_u32 v86, v36, 2, 0
	v_and_or_b32 v36, v78, s4, v83
	v_fmac_f32_e32 v48, v11, v46
	v_lshl_add_u32 v87, v36, 2, 0
	v_and_or_b32 v36, v79, s4, v83
	s_movk_i32 s4, 0x7fc
	v_sub_f32_e32 v48, v39, v48
	v_lshl_add_u32 v14, v14, 2, 0
	v_lshl_add_u32 v88, v36, 2, 0
	v_and_or_b32 v36, v80, s4, v83
	v_fma_f32 v39, v39, 2.0, -v48
	ds_write2_b32 v14, v52, v38 offset1:2
	ds_write2_b32 v63, v53, v40 offset1:2
	ds_write2_b32 v64, v54, v41 offset1:2
	ds_write2_b32 v65, v55, v42 offset1:2
	ds_write2_b32 v66, v60, v43 offset1:2
	v_lshl_add_u32 v89, v36, 2, 0
	v_lshlrev_b32_e32 v60, 1, v37
	ds_write2_b32 v86, v61, v44 offset1:2
	ds_write2_b32 v87, v62, v45 offset1:2
	;; [unrolled: 1-line block ×4, first 2 shown]
	s_and_saveexec_b64 s[4:5], vcc
	s_cbranch_execz .LBB0_25
; %bb.24:
	s_movk_i32 s6, 0x4fc
	v_and_or_b32 v36, v60, s6, v83
	v_lshl_add_u32 v36, v36, 2, 0
	ds_write2_b32 v36, v59, v56 offset1:2
.LBB0_25:
	s_or_b64 exec, exec, s[4:5]
	v_add_u32_e32 v36, 0x600, v1
	s_waitcnt lgkmcnt(0)
	; wave barrier
	s_waitcnt lgkmcnt(0)
	ds_read2_b32 v[44:45], v36 offset0:120 offset1:204
	v_add_u32_e32 v36, 0x800, v1
	v_add_u32_e32 v38, 0x200, v1
	;; [unrolled: 1-line block ×3, first 2 shown]
	ds_read2_b32 v[48:49], v1 offset1:56
	ds_read2_b32 v[42:43], v36 offset0:132 offset1:188
	ds_read2_b32 v[50:51], v1 offset0:112 offset1:168
	v_add_u32_e32 v36, 0xa00, v1
	ds_read2_b32 v[52:53], v38 offset0:96 offset1:152
	v_add_u32_e32 v38, 0xc00, v1
	;; [unrolled: 2-line block ×3, first 2 shown]
	ds_read2_b32 v[36:37], v36 offset0:116 offset1:172
	ds_read2_b32 v[38:39], v38 offset0:100 offset1:156
	;; [unrolled: 1-line block ×3, first 2 shown]
	ds_read_b32 v62, v82
	ds_read_b32 v61, v1 offset:4368
	s_and_saveexec_b64 s[4:5], vcc
	s_cbranch_execz .LBB0_27
; %bb.26:
	ds_read_b32 v59, v1 offset:2240
	ds_read_b32 v56, v1 offset:4592
.LBB0_27:
	s_or_b64 exec, exec, s[4:5]
	v_mul_f32_e32 v15, v15, v47
	v_mul_f32_e32 v12, v12, v47
	;; [unrolled: 1-line block ×8, first 2 shown]
	v_fma_f32 v15, v19, v46, -v15
	v_fma_f32 v12, v34, v46, -v12
	;; [unrolled: 1-line block ×7, first 2 shown]
	v_mul_f32_e32 v10, v10, v47
	v_mul_f32_e32 v11, v11, v47
	;; [unrolled: 1-line block ×3, first 2 shown]
	v_fma_f32 v5, v17, v46, -v5
	v_fma_f32 v10, v32, v46, -v10
	;; [unrolled: 1-line block ×4, first 2 shown]
	v_sub_f32_e32 v15, v20, v15
	v_sub_f32_e32 v12, v21, v12
	;; [unrolled: 1-line block ×8, first 2 shown]
	v_fma_f32 v17, v20, 2.0, -v15
	v_fma_f32 v20, v21, 2.0, -v12
	;; [unrolled: 1-line block ×7, first 2 shown]
	v_sub_f32_e32 v10, v27, v10
	v_sub_f32_e32 v11, v84, v11
	;; [unrolled: 1-line block ×3, first 2 shown]
	v_fma_f32 v26, v16, 2.0, -v32
	v_fma_f32 v27, v27, 2.0, -v10
	v_fma_f32 v28, v84, 2.0, -v11
	v_fma_f32 v18, v18, 2.0, -v19
	s_waitcnt lgkmcnt(0)
	; wave barrier
	s_waitcnt lgkmcnt(0)
	ds_write2_b32 v4, v17, v15 offset1:2
	ds_write2_b32 v14, v20, v12 offset1:2
	;; [unrolled: 1-line block ×10, first 2 shown]
	s_and_saveexec_b64 s[4:5], vcc
	s_cbranch_execz .LBB0_29
; %bb.28:
	s_movk_i32 s6, 0x4fc
	v_and_or_b32 v4, v60, s6, v83
	v_lshl_add_u32 v4, v4, 2, 0
	ds_write2_b32 v4, v26, v32 offset1:2
.LBB0_29:
	s_or_b64 exec, exec, s[4:5]
	v_add_u32_e32 v4, 0x600, v1
	v_add_u32_e32 v8, 0x800, v1
	;; [unrolled: 1-line block ×3, first 2 shown]
	s_waitcnt lgkmcnt(0)
	; wave barrier
	s_waitcnt lgkmcnt(0)
	ds_read2_b32 v[6:7], v1 offset1:56
	ds_read2_b32 v[4:5], v4 offset0:120 offset1:204
	ds_read2_b32 v[22:23], v8 offset0:132 offset1:188
	;; [unrolled: 1-line block ×3, first 2 shown]
	v_add_u32_e32 v10, 0xa00, v1
	ds_read2_b32 v[18:19], v12 offset0:100 offset1:156
	v_add_u32_e32 v12, 0x400, v1
	ds_read2_b32 v[16:17], v10 offset0:116 offset1:172
	;; [unrolled: 2-line block ×4, first 2 shown]
	ds_read2_b32 v[20:21], v12 offset0:84 offset1:140
	ds_read_b32 v24, v82
	ds_read_b32 v25, v1 offset:4368
	s_and_saveexec_b64 s[4:5], vcc
	s_cbranch_execz .LBB0_31
; %bb.30:
	ds_read_b32 v26, v1 offset:2240
	ds_read_b32 v32, v1 offset:4592
.LBB0_31:
	s_or_b64 exec, exec, s[4:5]
	v_and_b32_e32 v33, 3, v0
	v_lshlrev_b32_e32 v12, 3, v33
	global_load_dwordx2 v[12:13], v12, s[8:9] offset:16
	s_movk_i32 s4, 0x78
	s_movk_i32 s5, 0xf8
	;; [unrolled: 1-line block ×5, first 2 shown]
	v_and_or_b32 v27, v57, s4, v33
	v_and_or_b32 v28, v58, s5, v33
	;; [unrolled: 1-line block ×6, first 2 shown]
	v_lshl_add_u32 v35, v27, 2, 0
	s_movk_i32 s11, 0x7f8
	v_and_or_b32 v64, v77, s7, v33
	v_lshl_add_u32 v46, v28, 2, 0
	v_lshl_add_u32 v47, v29, 2, 0
	v_lshl_add_u32 v57, v30, 2, 0
	v_lshl_add_u32 v58, v31, 2, 0
	v_lshl_add_u32 v63, v34, 2, 0
	v_and_or_b32 v65, v78, s7, v33
	v_and_or_b32 v66, v79, s7, v33
	;; [unrolled: 1-line block ×3, first 2 shown]
	v_lshl_add_u32 v64, v64, 2, 0
	v_lshl_add_u32 v65, v65, 2, 0
	;; [unrolled: 1-line block ×4, first 2 shown]
	s_waitcnt lgkmcnt(0)
	; wave barrier
	s_waitcnt vmcnt(0) lgkmcnt(0)
	v_mul_f32_e32 v27, v5, v13
	v_mul_f32_e32 v28, v22, v13
	;; [unrolled: 1-line block ×10, first 2 shown]
	v_fmac_f32_e32 v27, v45, v12
	v_fmac_f32_e32 v28, v42, v12
	;; [unrolled: 1-line block ×10, first 2 shown]
	v_sub_f32_e32 v27, v48, v27
	v_sub_f32_e32 v28, v49, v28
	;; [unrolled: 1-line block ×10, first 2 shown]
	v_fma_f32 v48, v48, 2.0, -v27
	v_fma_f32 v49, v49, 2.0, -v28
	;; [unrolled: 1-line block ×10, first 2 shown]
	ds_write2_b32 v35, v48, v27 offset1:4
	ds_write2_b32 v46, v49, v28 offset1:4
	ds_write2_b32 v47, v50, v29 offset1:4
	ds_write2_b32 v57, v51, v30 offset1:4
	ds_write2_b32 v58, v52, v31 offset1:4
	ds_write2_b32 v63, v53, v34 offset1:4
	ds_write2_b32 v64, v54, v74 offset1:4
	ds_write2_b32 v65, v55, v75 offset1:4
	ds_write2_b32 v66, v62, v76 offset1:4
	ds_write2_b32 v73, v44, v77 offset1:4
	s_and_saveexec_b64 s[4:5], vcc
	s_cbranch_execz .LBB0_33
; %bb.32:
	v_mul_f32_e32 v28, v32, v13
	s_movk_i32 s6, 0x4f8
	v_fmac_f32_e32 v28, v56, v12
	v_and_or_b32 v27, v60, s6, v33
	v_sub_f32_e32 v28, v59, v28
	v_lshl_add_u32 v27, v27, 2, 0
	v_fma_f32 v29, v59, 2.0, -v28
	ds_write2_b32 v27, v29, v28 offset1:4
.LBB0_33:
	s_or_b64 exec, exec, s[4:5]
	v_mul_f32_e32 v27, v45, v13
	v_fma_f32 v5, v5, v12, -v27
	v_mul_f32_e32 v27, v42, v13
	v_fma_f32 v22, v22, v12, -v27
	;; [unrolled: 2-line block ×10, first 2 shown]
	v_sub_f32_e32 v40, v8, v23
	v_sub_f32_e32 v42, v9, v16
	;; [unrolled: 1-line block ×6, first 2 shown]
	v_add_u32_e32 v28, 0x400, v1
	v_add_u32_e32 v27, 0xc00, v1
	v_sub_f32_e32 v36, v6, v5
	v_sub_f32_e32 v38, v7, v22
	v_fma_f32 v41, v8, 2.0, -v40
	v_fma_f32 v43, v9, 2.0, -v42
	;; [unrolled: 1-line block ×4, first 2 shown]
	v_sub_f32_e32 v50, v14, v19
	v_sub_f32_e32 v52, v15, v20
	v_fma_f32 v55, v24, 2.0, -v54
	v_fma_f32 v61, v4, 2.0, -v59
	s_waitcnt lgkmcnt(0)
	; wave barrier
	s_waitcnt lgkmcnt(0)
	ds_read2_b32 v[10:11], v1 offset1:56
	ds_read2_b32 v[4:5], v28 offset0:80 offset1:136
	ds_read2_b32 v[24:25], v27 offset0:16 offset1:72
	;; [unrolled: 1-line block ×5, first 2 shown]
	v_add_u32_e32 v29, 0x800, v1
	v_add_u32_e32 v30, 0x200, v1
	;; [unrolled: 1-line block ×3, first 2 shown]
	v_fma_f32 v37, v6, 2.0, -v36
	v_fma_f32 v39, v7, 2.0, -v38
	;; [unrolled: 1-line block ×4, first 2 shown]
	ds_read2_b32 v[18:19], v29 offset0:48 offset1:104
	ds_read2_b32 v[6:7], v30 offset0:96 offset1:152
	;; [unrolled: 1-line block ×4, first 2 shown]
	ds_read_b32 v34, v1 offset:4480
	s_waitcnt lgkmcnt(0)
	; wave barrier
	s_waitcnt lgkmcnt(0)
	ds_write2_b32 v35, v37, v36 offset1:4
	ds_write2_b32 v46, v39, v38 offset1:4
	;; [unrolled: 1-line block ×10, first 2 shown]
	s_and_saveexec_b64 s[4:5], vcc
	s_cbranch_execz .LBB0_35
; %bb.34:
	v_mul_f32_e32 v13, v56, v13
	v_fma_f32 v12, v32, v12, -v13
	v_sub_f32_e32 v12, v26, v12
	s_movk_i32 s6, 0x4f8
	v_fma_f32 v13, v26, 2.0, -v12
	v_and_or_b32 v26, v60, s6, v33
	v_lshl_add_u32 v26, v26, 2, 0
	ds_write2_b32 v26, v13, v12 offset1:4
.LBB0_35:
	s_or_b64 exec, exec, s[4:5]
	v_and_b32_e32 v55, 7, v0
	v_lshlrev_b32_e32 v12, 4, v55
	s_waitcnt lgkmcnt(0)
	; wave barrier
	s_waitcnt lgkmcnt(0)
	global_load_dwordx4 v[35:38], v12, s[8:9] offset:48
	ds_read2_b32 v[12:13], v1 offset1:56
	ds_read2_b32 v[32:33], v28 offset0:80 offset1:136
	ds_read2_b32 v[39:40], v27 offset0:16 offset1:72
	;; [unrolled: 1-line block ×9, first 2 shown]
	ds_read_b32 v26, v1 offset:4480
	s_waitcnt lgkmcnt(0)
	; wave barrier
	s_waitcnt lgkmcnt(0)
	s_movk_i32 s4, 0xab
	s_mov_b32 s5, 0x3f3bfb3b
	s_mov_b32 s6, 0xbf3bfb3b
	;; [unrolled: 1-line block ×3, first 2 shown]
	s_waitcnt vmcnt(0)
	v_mul_f32_e32 v56, v33, v36
	v_mul_f32_e32 v58, v39, v38
	;; [unrolled: 1-line block ×5, first 2 shown]
	v_fmac_f32_e32 v56, v5, v35
	v_fmac_f32_e32 v58, v24, v37
	v_mul_f32_e32 v60, v41, v36
	v_mul_f32_e32 v61, v22, v36
	;; [unrolled: 1-line block ×23, first 2 shown]
	v_fma_f32 v5, v33, v35, -v57
	v_fma_f32 v24, v39, v37, -v59
	v_fmac_f32_e32 v87, v34, v37
	v_add_f32_e32 v34, v56, v58
	v_fmac_f32_e32 v60, v22, v35
	v_fma_f32 v22, v41, v35, -v61
	v_fmac_f32_e32 v64, v23, v35
	v_fma_f32 v23, v42, v35, -v65
	;; [unrolled: 2-line block ×6, first 2 shown]
	v_add_f32_e32 v33, v10, v56
	v_sub_f32_e32 v35, v5, v24
	v_add_f32_e32 v36, v12, v5
	v_add_f32_e32 v5, v5, v24
	v_fma_f32 v10, -0.5, v34, v10
	v_fmac_f32_e32 v62, v25, v37
	v_fma_f32 v5, -0.5, v5, v12
	v_mov_b32_e32 v12, v10
	v_fmac_f32_e32 v10, 0x3f5db3d7, v35
	v_fmac_f32_e32 v12, 0xbf5db3d7, v35
	v_add_f32_e32 v35, v60, v62
	v_fma_f32 v25, v40, v37, -v63
	v_fmac_f32_e32 v66, v20, v37
	v_fma_f32 v20, v45, v37, -v73
	v_fmac_f32_e32 v76, v21, v37
	;; [unrolled: 2-line block ×4, first 2 shown]
	v_fma_f32 v17, v52, v37, -v85
	v_fma_f32 v26, v26, v37, -v38
	v_sub_f32_e32 v37, v56, v58
	v_add_f32_e32 v34, v36, v24
	v_mov_b32_e32 v36, v5
	v_add_f32_e32 v24, v11, v60
	v_fmac_f32_e32 v11, -0.5, v35
	v_fmac_f32_e32 v5, 0xbf5db3d7, v37
	v_fmac_f32_e32 v36, 0x3f5db3d7, v37
	v_sub_f32_e32 v35, v22, v25
	v_mov_b32_e32 v37, v11
	v_fmac_f32_e32 v37, 0xbf5db3d7, v35
	v_fmac_f32_e32 v11, 0x3f5db3d7, v35
	v_add_f32_e32 v35, v13, v22
	v_add_f32_e32 v22, v22, v25
	v_fmac_f32_e32 v13, -0.5, v22
	v_add_f32_e32 v35, v35, v25
	v_sub_f32_e32 v22, v60, v62
	v_mov_b32_e32 v38, v13
	v_add_f32_e32 v25, v64, v66
	v_fmac_f32_e32 v38, 0x3f5db3d7, v22
	v_fmac_f32_e32 v13, 0xbf5db3d7, v22
	v_add_f32_e32 v22, v8, v64
	v_fma_f32 v8, -0.5, v25, v8
	v_sub_f32_e32 v25, v23, v20
	v_mov_b32_e32 v39, v8
	v_fmac_f32_e32 v39, 0xbf5db3d7, v25
	v_fmac_f32_e32 v8, 0x3f5db3d7, v25
	v_add_f32_e32 v25, v43, v23
	v_add_f32_e32 v40, v25, v20
	;; [unrolled: 1-line block ×3, first 2 shown]
	v_fma_f32 v20, -0.5, v20, v43
	v_sub_f32_e32 v23, v64, v66
	v_mov_b32_e32 v41, v20
	v_add_f32_e32 v25, v74, v76
	v_fmac_f32_e32 v41, 0x3f5db3d7, v23
	v_fmac_f32_e32 v20, 0xbf5db3d7, v23
	v_add_f32_e32 v23, v9, v74
	v_fmac_f32_e32 v9, -0.5, v25
	v_sub_f32_e32 v25, v18, v21
	v_mov_b32_e32 v42, v9
	v_fmac_f32_e32 v42, 0xbf5db3d7, v25
	v_fmac_f32_e32 v9, 0x3f5db3d7, v25
	v_add_f32_e32 v25, v44, v18
	v_add_f32_e32 v18, v18, v21
	v_fmac_f32_e32 v44, -0.5, v18
	v_add_f32_e32 v43, v25, v21
	v_sub_f32_e32 v18, v74, v76
	v_mov_b32_e32 v21, v44
	v_add_f32_e32 v25, v78, v80
	v_fmac_f32_e32 v21, 0x3f5db3d7, v18
	v_fmac_f32_e32 v44, 0xbf5db3d7, v18
	v_add_f32_e32 v18, v6, v78
	v_fma_f32 v6, -0.5, v25, v6
	v_sub_f32_e32 v25, v19, v16
	v_mov_b32_e32 v45, v6
	v_fmac_f32_e32 v45, 0xbf5db3d7, v25
	v_fmac_f32_e32 v6, 0x3f5db3d7, v25
	v_add_f32_e32 v25, v49, v19
	v_add_f32_e32 v46, v25, v16
	;; [unrolled: 1-line block ×3, first 2 shown]
	v_fma_f32 v16, -0.5, v16, v49
	v_sub_f32_e32 v19, v78, v80
	v_mov_b32_e32 v47, v16
	v_add_f32_e32 v25, v82, v84
	v_fmac_f32_e32 v47, 0x3f5db3d7, v19
	v_fmac_f32_e32 v16, 0xbf5db3d7, v19
	v_add_f32_e32 v19, v7, v82
	v_fmac_f32_e32 v7, -0.5, v25
	v_sub_f32_e32 v25, v14, v17
	v_mov_b32_e32 v48, v7
	v_fmac_f32_e32 v48, 0xbf5db3d7, v25
	v_fmac_f32_e32 v7, 0x3f5db3d7, v25
	v_add_f32_e32 v25, v50, v14
	v_add_f32_e32 v14, v14, v17
	v_fmac_f32_e32 v50, -0.5, v14
	v_add_f32_e32 v73, v25, v17
	v_sub_f32_e32 v14, v82, v84
	v_mov_b32_e32 v17, v50
	v_add_f32_e32 v25, v86, v87
	v_fmac_f32_e32 v17, 0x3f5db3d7, v14
	v_fmac_f32_e32 v50, 0xbf5db3d7, v14
	v_add_f32_e32 v14, v4, v86
	v_fmac_f32_e32 v4, -0.5, v25
	v_sub_f32_e32 v25, v15, v26
	v_mov_b32_e32 v49, v4
	v_fmac_f32_e32 v49, 0xbf5db3d7, v25
	v_fmac_f32_e32 v4, 0x3f5db3d7, v25
	v_add_f32_e32 v25, v32, v15
	v_add_f32_e32 v15, v15, v26
	v_fmac_f32_e32 v32, -0.5, v15
	v_sub_f32_e32 v15, v86, v87
	v_mov_b32_e32 v75, v32
	v_fmac_f32_e32 v75, 0x3f5db3d7, v15
	v_fmac_f32_e32 v32, 0xbf5db3d7, v15
	v_lshrrev_b32_e32 v15, 3, v0
	v_mul_u32_u24_e32 v15, 24, v15
	v_or_b32_e32 v15, v15, v55
	v_add_f32_e32 v33, v33, v58
	v_lshl_add_u32 v15, v15, 2, 0
	ds_write2_b32 v15, v33, v12 offset1:8
	ds_write_b32 v15, v10 offset:64
	v_lshrrev_b32_e32 v10, 3, v68
	v_mul_u32_u24_e32 v10, 24, v10
	v_or_b32_e32 v10, v10, v55
	v_add_f32_e32 v24, v24, v62
	v_add_f32_e32 v74, v25, v26
	v_lshl_add_u32 v10, v10, 2, 0
	v_lshrrev_b32_e32 v26, 3, v67
	ds_write2_b32 v10, v24, v37 offset1:8
	ds_write_b32 v10, v11 offset:64
	v_mul_u32_u24_e32 v11, 24, v26
	v_or_b32_e32 v11, v11, v55
	v_add_f32_e32 v22, v22, v66
	v_lshl_add_u32 v11, v11, 2, 0
	ds_write2_b32 v11, v22, v39 offset1:8
	ds_write_b32 v11, v8 offset:64
	v_lshrrev_b32_e32 v8, 3, v72
	v_mul_u32_u24_e32 v8, 24, v8
	v_or_b32_e32 v8, v8, v55
	v_add_f32_e32 v23, v23, v76
	v_lshl_add_u32 v8, v8, 2, 0
	ds_write2_b32 v8, v23, v42 offset1:8
	ds_write_b32 v8, v9 offset:64
	v_lshrrev_b32_e32 v9, 3, v71
	;; [unrolled: 7-line block ×4, first 2 shown]
	v_mul_u32_u24_e32 v7, 24, v7
	v_or_b32_e32 v7, v7, v55
	v_add_f32_e32 v14, v14, v87
	v_lshl_add_u32 v7, v7, 2, 0
	ds_write2_b32 v7, v14, v49 offset1:8
	ds_write_b32 v7, v4 offset:64
	v_mul_lo_u16_sdwa v4, v0, s4 dst_sel:DWORD dst_unused:UNUSED_PAD src0_sel:BYTE_0 src1_sel:DWORD
	s_waitcnt lgkmcnt(0)
	; wave barrier
	s_waitcnt lgkmcnt(0)
	ds_read2_b32 v[24:25], v1 offset1:56
	ds_read2_b32 v[48:49], v1 offset0:112 offset1:168
	ds_read2_b32 v[51:52], v28 offset0:80 offset1:136
	ds_read2_b32 v[53:54], v28 offset0:192 offset1:248
	ds_read2_b32 v[55:56], v29 offset0:160 offset1:216
	ds_read2_b32 v[57:58], v27 offset0:16 offset1:72
	ds_read2_b32 v[59:60], v31 offset0:112 offset1:168
	ds_read2_b32 v[61:62], v30 offset0:96 offset1:152
	ds_read2_b32 v[63:64], v29 offset0:48 offset1:104
	ds_read2_b32 v[65:66], v27 offset0:128 offset1:184
	ds_read_b32 v88, v1 offset:4480
	s_waitcnt lgkmcnt(0)
	; wave barrier
	s_waitcnt lgkmcnt(0)
	ds_write2_b32 v15, v34, v36 offset1:8
	ds_write_b32 v15, v5 offset:64
	ds_write2_b32 v10, v35, v38 offset1:8
	ds_write_b32 v10, v13 offset:64
	ds_write2_b32 v11, v40, v41 offset1:8
	ds_write_b32 v11, v20 offset:64
	ds_write2_b32 v8, v43, v21 offset1:8
	ds_write_b32 v8, v44 offset:64
	ds_write2_b32 v9, v46, v47 offset1:8
	ds_write_b32 v9, v16 offset:64
	ds_write2_b32 v6, v73, v17 offset1:8
	ds_write_b32 v6, v50 offset:64
	ds_write2_b32 v7, v74, v75 offset1:8
	ds_write_b32 v7, v32 offset:64
	v_lshrrev_b16_e32 v50, 12, v4
	v_mul_lo_u16_e32 v4, 24, v50
	v_sub_u16_e32 v89, v0, v4
	v_mov_b32_e32 v36, 6
	v_mul_u32_u24_sdwa v4, v89, v36 dst_sel:DWORD dst_unused:UNUSED_PAD src0_sel:BYTE_0 src1_sel:DWORD
	v_lshlrev_b32_e32 v16, 3, v4
	s_waitcnt lgkmcnt(0)
	; wave barrier
	s_waitcnt lgkmcnt(0)
	global_load_dwordx4 v[4:7], v16, s[8:9] offset:176
	global_load_dwordx4 v[8:11], v16, s[8:9] offset:192
	;; [unrolled: 1-line block ×3, first 2 shown]
	v_mul_lo_u16_sdwa v16, v68, s4 dst_sel:DWORD dst_unused:UNUSED_PAD src0_sel:BYTE_0 src1_sel:DWORD
	v_lshrrev_b16_e32 v90, 12, v16
	v_mul_lo_u16_e32 v16, 24, v90
	v_sub_u16_e32 v91, v68, v16
	v_mul_u32_u24_sdwa v16, v91, v36 dst_sel:DWORD dst_unused:UNUSED_PAD src0_sel:BYTE_0 src1_sel:DWORD
	v_lshlrev_b32_e32 v37, 3, v16
	global_load_dwordx4 v[16:19], v37, s[8:9] offset:176
	global_load_dwordx4 v[20:23], v37, s[8:9] offset:192
	;; [unrolled: 1-line block ×3, first 2 shown]
	v_mul_lo_u16_sdwa v37, v67, s4 dst_sel:DWORD dst_unused:UNUSED_PAD src0_sel:BYTE_0 src1_sel:DWORD
	v_lshrrev_b16_e32 v92, 12, v37
	v_mul_lo_u16_e32 v37, 24, v92
	v_sub_u16_e32 v93, v67, v37
	v_mul_u32_u24_sdwa v36, v93, v36 dst_sel:DWORD dst_unused:UNUSED_PAD src0_sel:BYTE_0 src1_sel:DWORD
	v_lshlrev_b32_e32 v68, 3, v36
	global_load_dwordx4 v[36:39], v68, s[8:9] offset:176
	global_load_dwordx4 v[40:43], v68, s[8:9] offset:192
	;; [unrolled: 1-line block ×3, first 2 shown]
	ds_read2_b32 v[68:69], v1 offset1:56
	ds_read2_b32 v[70:71], v1 offset0:112 offset1:168
	ds_read2_b32 v[72:73], v28 offset0:80 offset1:136
	;; [unrolled: 1-line block ×9, first 2 shown]
	ds_read_b32 v94, v1 offset:4480
	s_mov_b32 s4, 0xbf5ff5aa
	s_waitcnt lgkmcnt(0)
	; wave barrier
	s_waitcnt vmcnt(8) lgkmcnt(0)
	v_mul_f32_e32 v95, v71, v5
	v_mul_f32_e32 v5, v49, v5
	v_fmac_f32_e32 v95, v49, v4
	v_fma_f32 v4, v71, v4, -v5
	v_mul_f32_e32 v5, v72, v7
	v_mul_f32_e32 v7, v51, v7
	v_fmac_f32_e32 v5, v51, v6
	v_fma_f32 v6, v72, v6, -v7
	s_waitcnt vmcnt(7)
	v_mul_f32_e32 v7, v75, v9
	v_mul_f32_e32 v9, v54, v9
	v_fmac_f32_e32 v7, v54, v8
	v_fma_f32 v8, v75, v8, -v9
	v_mul_f32_e32 v9, v76, v11
	v_mul_f32_e32 v11, v55, v11
	v_fmac_f32_e32 v9, v55, v10
	v_fma_f32 v10, v76, v10, -v11
	s_waitcnt vmcnt(6)
	;; [unrolled: 9-line block ×8, first 2 shown]
	v_mul_f32_e32 v43, v87, v45
	v_mul_f32_e32 v45, v66, v45
	v_fmac_f32_e32 v43, v66, v44
	v_fma_f32 v44, v87, v44, -v45
	v_mul_f32_e32 v45, v94, v47
	v_mul_f32_e32 v47, v88, v47
	v_fmac_f32_e32 v45, v88, v46
	v_fma_f32 v46, v94, v46, -v47
	v_add_f32_e32 v47, v95, v13
	v_add_f32_e32 v49, v4, v14
	v_sub_f32_e32 v4, v4, v14
	v_add_f32_e32 v14, v5, v11
	v_add_f32_e32 v51, v6, v12
	v_sub_f32_e32 v5, v5, v11
	v_add_f32_e32 v11, v7, v9
	v_sub_f32_e32 v7, v9, v7
	v_add_f32_e32 v9, v14, v47
	v_sub_f32_e32 v6, v6, v12
	v_add_f32_e32 v12, v8, v10
	v_sub_f32_e32 v8, v10, v8
	v_add_f32_e32 v10, v51, v49
	v_add_f32_e32 v9, v11, v9
	v_sub_f32_e32 v13, v95, v13
	v_sub_f32_e32 v53, v51, v49
	;; [unrolled: 1-line block ×4, first 2 shown]
	v_add_f32_e32 v54, v7, v5
	v_add_f32_e32 v10, v12, v10
	v_add_f32_e32 v12, v24, v9
	v_sub_f32_e32 v52, v14, v47
	v_sub_f32_e32 v47, v47, v11
	v_sub_f32_e32 v14, v11, v14
	v_add_f32_e32 v55, v8, v6
	v_sub_f32_e32 v56, v7, v5
	v_sub_f32_e32 v57, v8, v6
	;; [unrolled: 1-line block ×3, first 2 shown]
	v_add_f32_e32 v11, v54, v13
	v_add_f32_e32 v54, v68, v10
	v_mov_b32_e32 v59, v12
	v_sub_f32_e32 v7, v13, v7
	v_sub_f32_e32 v8, v4, v8
	;; [unrolled: 1-line block ×3, first 2 shown]
	v_add_f32_e32 v4, v55, v4
	v_mul_f32_e32 v13, 0x3f4a47b2, v47
	v_mul_f32_e32 v24, 0x3f4a47b2, v49
	;; [unrolled: 1-line block ×7, first 2 shown]
	v_fmac_f32_e32 v59, 0xbf955555, v9
	v_mov_b32_e32 v9, v54
	v_mul_f32_e32 v57, 0xbf5ff5aa, v5
	v_fmac_f32_e32 v9, 0xbf955555, v10
	v_fma_f32 v10, v52, s5, -v47
	v_fma_f32 v47, v53, s5, -v49
	;; [unrolled: 1-line block ×5, first 2 shown]
	v_fmac_f32_e32 v56, 0xbeae86e6, v8
	v_fma_f32 v8, v8, s7, -v58
	v_fmac_f32_e32 v13, 0x3d64c772, v14
	v_fma_f32 v14, v53, s6, -v24
	v_fmac_f32_e32 v24, 0x3d64c772, v51
	v_fmac_f32_e32 v55, 0xbeae86e6, v7
	v_fma_f32 v7, v7, s7, -v57
	v_add_f32_e32 v10, v10, v59
	v_add_f32_e32 v47, v47, v9
	;; [unrolled: 1-line block ×3, first 2 shown]
	v_fmac_f32_e32 v5, 0xbee1c552, v11
	v_fmac_f32_e32 v6, 0xbee1c552, v4
	;; [unrolled: 1-line block ×3, first 2 shown]
	v_add_f32_e32 v13, v13, v59
	v_add_f32_e32 v24, v24, v9
	;; [unrolled: 1-line block ×3, first 2 shown]
	v_fmac_f32_e32 v55, 0xbee1c552, v11
	v_fmac_f32_e32 v56, 0xbee1c552, v4
	;; [unrolled: 1-line block ×3, first 2 shown]
	v_add_f32_e32 v11, v8, v49
	v_sub_f32_e32 v14, v10, v6
	v_add_f32_e32 v53, v5, v47
	v_add_f32_e32 v6, v6, v10
	v_sub_f32_e32 v47, v47, v5
	v_sub_f32_e32 v5, v49, v8
	v_add_f32_e32 v8, v15, v33
	v_sub_f32_e32 v10, v15, v33
	v_add_f32_e32 v15, v17, v23
	v_add_f32_e32 v4, v56, v13
	v_sub_f32_e32 v52, v9, v7
	v_add_f32_e32 v49, v7, v9
	v_sub_f32_e32 v7, v13, v56
	;; [unrolled: 2-line block ×6, first 2 shown]
	v_add_f32_e32 v55, v55, v24
	v_add_f32_e32 v24, v20, v22
	v_sub_f32_e32 v20, v22, v20
	v_add_f32_e32 v22, v16, v9
	v_add_f32_e32 v21, v23, v21
	v_sub_f32_e32 v18, v18, v32
	v_sub_f32_e32 v32, v15, v8
	v_sub_f32_e32 v8, v8, v23
	v_sub_f32_e32 v15, v23, v15
	v_add_f32_e32 v34, v19, v17
	v_add_f32_e32 v22, v24, v22
	;; [unrolled: 1-line block ×3, first 2 shown]
	v_sub_f32_e32 v33, v16, v9
	v_sub_f32_e32 v9, v9, v24
	;; [unrolled: 1-line block ×3, first 2 shown]
	v_add_f32_e32 v56, v20, v18
	v_sub_f32_e32 v57, v19, v17
	v_sub_f32_e32 v19, v10, v19
	v_sub_f32_e32 v17, v17, v10
	v_add_f32_e32 v10, v34, v10
	v_add_f32_e32 v34, v69, v22
	v_mov_b32_e32 v60, v23
	v_sub_f32_e32 v58, v20, v18
	v_sub_f32_e32 v20, v13, v20
	;; [unrolled: 1-line block ×3, first 2 shown]
	v_add_f32_e32 v13, v56, v13
	v_mul_f32_e32 v8, 0x3f4a47b2, v8
	v_mul_f32_e32 v9, 0x3f4a47b2, v9
	;; [unrolled: 1-line block ×5, first 2 shown]
	v_fmac_f32_e32 v60, 0xbf955555, v21
	v_mov_b32_e32 v21, v34
	v_mul_f32_e32 v57, 0x3f08b237, v58
	v_mul_f32_e32 v58, 0xbf5ff5aa, v17
	;; [unrolled: 1-line block ×3, first 2 shown]
	v_fmac_f32_e32 v21, 0xbf955555, v22
	v_fma_f32 v22, v32, s5, -v24
	v_fma_f32 v24, v33, s5, -v25
	;; [unrolled: 1-line block ×3, first 2 shown]
	v_fmac_f32_e32 v8, 0x3d64c772, v15
	v_fma_f32 v15, v33, s6, -v9
	v_fmac_f32_e32 v9, 0x3d64c772, v16
	v_fma_f32 v16, v17, s4, -v56
	;; [unrolled: 2-line block ×4, first 2 shown]
	v_fma_f32 v19, v20, s7, -v59
	v_add_f32_e32 v9, v9, v21
	v_add_f32_e32 v20, v22, v60
	;; [unrolled: 1-line block ×3, first 2 shown]
	v_fmac_f32_e32 v56, 0xbee1c552, v10
	v_fmac_f32_e32 v16, 0xbee1c552, v10
	v_add_f32_e32 v24, v25, v60
	v_add_f32_e32 v15, v15, v21
	v_fmac_f32_e32 v17, 0xbee1c552, v13
	v_fmac_f32_e32 v18, 0xbee1c552, v10
	;; [unrolled: 1-line block ×3, first 2 shown]
	v_sub_f32_e32 v32, v9, v56
	v_add_f32_e32 v58, v16, v22
	v_sub_f32_e32 v16, v22, v16
	v_add_f32_e32 v56, v56, v9
	v_add_f32_e32 v9, v35, v45
	;; [unrolled: 1-line block ×3, first 2 shown]
	v_fmac_f32_e32 v57, 0xbee1c552, v13
	v_add_f32_e32 v13, v19, v24
	v_sub_f32_e32 v33, v15, v18
	v_sub_f32_e32 v21, v20, v17
	v_add_f32_e32 v17, v17, v20
	v_sub_f32_e32 v19, v24, v19
	v_add_f32_e32 v59, v18, v15
	v_add_f32_e32 v15, v36, v46
	v_sub_f32_e32 v18, v35, v45
	v_sub_f32_e32 v20, v36, v46
	v_add_f32_e32 v24, v38, v44
	v_sub_f32_e32 v25, v37, v43
	v_sub_f32_e32 v35, v38, v44
	v_add_f32_e32 v36, v39, v41
	v_add_f32_e32 v37, v40, v42
	v_sub_f32_e32 v38, v41, v39
	v_sub_f32_e32 v39, v42, v40
	v_add_f32_e32 v40, v22, v9
	v_add_f32_e32 v41, v24, v15
	v_sub_f32_e32 v42, v22, v9
	v_sub_f32_e32 v9, v9, v36
	;; [unrolled: 1-line block ×3, first 2 shown]
	v_add_f32_e32 v36, v36, v40
	v_add_f32_e32 v8, v8, v60
	v_sub_f32_e32 v43, v24, v15
	v_sub_f32_e32 v15, v15, v37
	;; [unrolled: 1-line block ×3, first 2 shown]
	v_add_f32_e32 v37, v37, v41
	v_add_f32_e32 v40, v48, v36
	;; [unrolled: 1-line block ×3, first 2 shown]
	v_sub_f32_e32 v8, v8, v57
	v_add_f32_e32 v44, v38, v25
	v_sub_f32_e32 v46, v38, v25
	v_sub_f32_e32 v57, v39, v35
	;; [unrolled: 1-line block ×3, first 2 shown]
	v_add_f32_e32 v41, v70, v37
	v_mov_b32_e32 v61, v40
	v_add_f32_e32 v45, v39, v35
	v_sub_f32_e32 v38, v18, v38
	v_sub_f32_e32 v35, v35, v20
	v_add_f32_e32 v18, v44, v18
	v_mul_f32_e32 v9, 0x3f4a47b2, v9
	v_mul_f32_e32 v15, 0x3f4a47b2, v15
	;; [unrolled: 1-line block ×6, first 2 shown]
	v_fmac_f32_e32 v61, 0xbf955555, v36
	v_mov_b32_e32 v36, v41
	v_sub_f32_e32 v39, v20, v39
	v_add_f32_e32 v20, v45, v20
	v_mul_f32_e32 v45, 0x3d64c772, v24
	v_mul_f32_e32 v60, 0xbf5ff5aa, v35
	v_fmac_f32_e32 v36, 0xbf955555, v37
	v_fma_f32 v37, v42, s5, -v44
	v_fma_f32 v42, v42, s6, -v9
	v_fmac_f32_e32 v9, 0x3d64c772, v22
	v_fma_f32 v22, v43, s6, -v15
	v_fmac_f32_e32 v15, 0x3d64c772, v24
	v_fma_f32 v24, v25, s4, -v46
	v_fma_f32 v25, v35, s4, -v48
	;; [unrolled: 1-line block ×4, first 2 shown]
	v_fmac_f32_e32 v46, 0xbeae86e6, v38
	v_fma_f32 v38, v39, s7, -v60
	v_add_f32_e32 v22, v22, v36
	v_fmac_f32_e32 v35, 0xbee1c552, v18
	v_fmac_f32_e32 v48, 0xbeae86e6, v39
	v_add_f32_e32 v15, v15, v36
	v_add_f32_e32 v37, v37, v61
	;; [unrolled: 1-line block ×4, first 2 shown]
	v_fmac_f32_e32 v46, 0xbee1c552, v18
	v_fmac_f32_e32 v24, 0xbee1c552, v18
	;; [unrolled: 1-line block ×4, first 2 shown]
	v_sub_f32_e32 v43, v22, v35
	v_add_f32_e32 v35, v35, v22
	v_mov_b32_e32 v22, 2
	v_fmac_f32_e32 v48, 0xbee1c552, v20
	v_sub_f32_e32 v36, v15, v46
	v_add_f32_e32 v20, v38, v42
	v_sub_f32_e32 v44, v37, v25
	v_add_f32_e32 v45, v24, v39
	v_add_f32_e32 v25, v25, v37
	v_sub_f32_e32 v37, v39, v24
	v_sub_f32_e32 v24, v42, v38
	v_add_f32_e32 v38, v46, v15
	v_mul_u32_u24_e32 v15, 0x2a0, v50
	v_lshlrev_b32_sdwa v39, v22, v89 dst_sel:DWORD dst_unused:UNUSED_PAD src0_sel:DWORD src1_sel:BYTE_0
	v_add3_u32 v39, 0, v15, v39
	ds_write2_b32 v39, v12, v4 offset1:24
	ds_write2_b32 v39, v11, v14 offset0:48 offset1:72
	ds_write2_b32 v39, v6, v5 offset0:96 offset1:120
	ds_write_b32 v39, v7 offset:576
	v_mul_u32_u24_e32 v4, 0x2a0, v90
	v_lshlrev_b32_sdwa v5, v22, v91 dst_sel:DWORD dst_unused:UNUSED_PAD src0_sel:DWORD src1_sel:BYTE_0
	v_add_f32_e32 v9, v9, v61
	v_add3_u32 v42, 0, v4, v5
	v_mul_u32_u24_e32 v4, 0x2a0, v92
	v_lshlrev_b32_sdwa v5, v22, v93 dst_sel:DWORD dst_unused:UNUSED_PAD src0_sel:DWORD src1_sel:BYTE_0
	v_add_f32_e32 v18, v48, v9
	v_sub_f32_e32 v9, v9, v48
	ds_write2_b32 v42, v23, v10 offset1:24
	ds_write2_b32 v42, v13, v21 offset0:48 offset1:72
	ds_write2_b32 v42, v17, v19 offset0:96 offset1:120
	ds_write_b32 v42, v8 offset:576
	v_add3_u32 v17, 0, v4, v5
	ds_write2_b32 v17, v40, v18 offset1:24
	ds_write2_b32 v17, v20, v44 offset0:48 offset1:72
	ds_write2_b32 v17, v25, v24 offset0:96 offset1:120
	ds_write_b32 v17, v9 offset:576
	s_waitcnt lgkmcnt(0)
	; wave barrier
	s_waitcnt lgkmcnt(0)
	ds_read2_b32 v[4:5], v1 offset1:56
	ds_read2_b32 v[14:15], v1 offset0:112 offset1:168
	ds_read2_b32 v[6:7], v28 offset0:80 offset1:136
	;; [unrolled: 1-line block ×9, first 2 shown]
	ds_read_b32 v27, v1 offset:4480
	s_waitcnt lgkmcnt(0)
	; wave barrier
	s_waitcnt lgkmcnt(0)
	ds_write2_b32 v39, v54, v51 offset1:24
	ds_write2_b32 v39, v52, v53 offset0:48 offset1:72
	ds_write2_b32 v39, v47, v49 offset0:96 offset1:120
	ds_write_b32 v39, v55 offset:576
	ds_write2_b32 v42, v34, v32 offset1:24
	ds_write2_b32 v42, v33, v58 offset0:48 offset1:72
	ds_write2_b32 v42, v16, v59 offset0:96 offset1:120
	ds_write_b32 v42, v56 offset:576
	;; [unrolled: 4-line block ×3, first 2 shown]
	s_waitcnt lgkmcnt(0)
	; wave barrier
	s_waitcnt lgkmcnt(0)
	s_and_saveexec_b64 s[10:11], s[0:1]
	s_cbranch_execz .LBB0_37
; %bb.36:
	v_mul_u32_u24_e32 v16, 6, v67
	v_lshlrev_b32_e32 v16, 3, v16
	global_load_dwordx4 v[28:31], v16, s[8:9] offset:1328
	global_load_dwordx4 v[32:35], v16, s[8:9] offset:1360
	;; [unrolled: 1-line block ×3, first 2 shown]
	v_add_u32_e32 v16, 0x200, v1
	v_mov_b32_e32 v41, 0xfffffeb0
	ds_read_b32 v66, v1 offset:4480
	v_add_u32_e32 v40, 0xc00, v1
	v_add_u32_e32 v71, 0x800, v1
	;; [unrolled: 1-line block ×3, first 2 shown]
	ds_read2_b32 v[52:53], v1 offset0:112 offset1:168
	v_mov_b32_e32 v17, 0
	ds_read2_b32 v[54:55], v16 offset0:96 offset1:152
	ds_read2_b32 v[56:57], v40 offset0:16 offset1:72
	;; [unrolled: 1-line block ×5, first 2 shown]
	v_mad_u32_u24 v16, v67, 6, v41
	v_lshlrev_b64 v[40:41], 3, v[16:17]
	v_mov_b32_e32 v42, s9
	v_add_co_u32_e32 v64, vcc, s8, v40
	v_addc_co_u32_e32 v65, vcc, v42, v41, vcc
	global_load_dwordx4 v[40:43], v[64:65], off offset:1328
	global_load_dwordx4 v[44:47], v[64:65], off offset:1360
	;; [unrolled: 1-line block ×3, first 2 shown]
	ds_read2_b32 v[71:72], v71 offset0:160 offset1:216
	ds_read2_b32 v[73:74], v73 offset0:80 offset1:136
	s_movk_i32 s0, 0x1000
	s_movk_i32 s1, 0x2000
	s_waitcnt vmcnt(5) lgkmcnt(6)
	v_mul_f32_e32 v16, v29, v55
	s_waitcnt vmcnt(4)
	v_mul_f32_e32 v64, v35, v66
	s_waitcnt vmcnt(3) lgkmcnt(5)
	v_mul_f32_e32 v65, v39, v56
	s_waitcnt lgkmcnt(4)
	v_mul_f32_e32 v67, v37, v59
	s_waitcnt lgkmcnt(3)
	;; [unrolled: 2-line block ×3, first 2 shown]
	v_mul_f32_e32 v69, v33, v63
	v_mul_f32_e32 v35, v27, v35
	;; [unrolled: 1-line block ×7, first 2 shown]
	v_fmac_f32_e32 v16, v25, v28
	v_fmac_f32_e32 v64, v27, v34
	;; [unrolled: 1-line block ×6, first 2 shown]
	v_fma_f32 v8, v34, v66, -v35
	v_fma_f32 v12, v28, v55, -v29
	v_fma_f32 v21, v36, v59, -v37
	v_fma_f32 v23, v38, v56, -v39
	v_fma_f32 v25, v32, v63, -v33
	v_fma_f32 v27, v30, v60, -v31
	v_sub_f32_e32 v28, v16, v64
	v_add_f32_e32 v31, v12, v8
	v_add_f32_e32 v32, v23, v21
	;; [unrolled: 1-line block ×4, first 2 shown]
	v_sub_f32_e32 v8, v12, v8
	v_sub_f32_e32 v12, v23, v21
	;; [unrolled: 1-line block ×5, first 2 shown]
	v_add_f32_e32 v33, v27, v25
	v_add_f32_e32 v34, v65, v67
	;; [unrolled: 1-line block ×3, first 2 shown]
	v_sub_f32_e32 v21, v8, v12
	v_sub_f32_e32 v25, v12, v23
	v_add_f32_e32 v12, v12, v23
	v_sub_f32_e32 v35, v29, v30
	v_add_f32_e32 v38, v31, v33
	v_sub_f32_e32 v56, v16, v34
	v_sub_f32_e32 v59, v34, v39
	v_add_f32_e32 v34, v34, v60
	v_mul_f32_e32 v25, 0x3f08b237, v25
	v_add_f32_e32 v12, v8, v12
	v_sub_f32_e32 v8, v23, v8
	v_sub_f32_e32 v37, v31, v32
	;; [unrolled: 1-line block ×3, first 2 shown]
	v_mul_f32_e32 v63, 0x3f08b237, v35
	v_add_f32_e32 v32, v32, v38
	v_add_f32_e32 v35, v14, v34
	v_mov_b32_e32 v27, v25
	v_mul_f32_e32 v23, 0xbf5ff5aa, v8
	v_mul_f32_e32 v65, 0x3d64c772, v36
	;; [unrolled: 1-line block ×3, first 2 shown]
	v_add_f32_e32 v36, v52, v32
	v_mov_b32_e32 v68, v35
	v_fmac_f32_e32 v27, 0xbeae86e6, v21
	v_sub_f32_e32 v16, v39, v16
	v_fma_f32 v21, v21, s7, -v23
	v_fma_f32 v8, v8, s4, -v25
	v_sub_f32_e32 v55, v28, v29
	v_add_f32_e32 v29, v29, v30
	v_mul_f32_e32 v64, 0x3f4a47b2, v37
	v_mov_b32_e32 v38, v65
	v_mov_b32_e32 v14, v36
	v_fmac_f32_e32 v68, 0xbf955555, v34
	v_fmac_f32_e32 v27, 0xbee1c552, v12
	v_sub_f32_e32 v31, v33, v31
	v_fmac_f32_e32 v21, 0xbee1c552, v12
	v_fmac_f32_e32 v8, 0xbee1c552, v12
	v_fma_f32 v12, v16, s5, -v59
	v_add_f32_e32 v29, v28, v29
	v_fmac_f32_e32 v38, 0x3f4a47b2, v37
	v_fmac_f32_e32 v14, 0xbf955555, v32
	v_sub_f32_e32 v28, v30, v28
	v_fma_f32 v33, v31, s6, -v64
	v_fma_f32 v23, v31, s5, -v65
	v_add_f32_e32 v12, v12, v68
	v_mov_b32_e32 v67, v63
	v_mov_b32_e32 v52, v59
	v_add_f32_e32 v32, v38, v14
	v_add_f32_e32 v33, v33, v14
	;; [unrolled: 1-line block ×3, first 2 shown]
	v_fma_f32 v23, v28, s4, -v63
	v_add_f32_e32 v59, v8, v12
	v_sub_f32_e32 v63, v12, v8
	v_add_u32_e32 v8, 0xe00, v1
	ds_read2_b32 v[69:70], v8 offset0:112 offset1:168
	v_mul_f32_e32 v66, 0x3f4a47b2, v56
	v_fma_f32 v39, v16, s6, -v66
	v_fmac_f32_e32 v52, 0x3f4a47b2, v56
	v_mul_f32_e32 v30, 0xbf5ff5aa, v28
	v_add_f32_e32 v39, v39, v68
	v_fmac_f32_e32 v23, 0xbee1c552, v29
	v_fmac_f32_e32 v67, 0xbeae86e6, v55
	v_add_f32_e32 v34, v52, v68
	v_fma_f32 v30, v55, s7, -v30
	v_sub_f32_e32 v55, v39, v21
	v_sub_f32_e32 v60, v14, v23
	v_add_f32_e32 v64, v23, v14
	v_add_f32_e32 v65, v21, v39
	s_waitcnt vmcnt(2)
	v_mul_f32_e32 v14, v41, v54
	s_waitcnt vmcnt(1) lgkmcnt(0)
	v_mul_f32_e32 v16, v47, v70
	s_waitcnt vmcnt(0)
	v_mul_f32_e32 v39, v51, v72
	v_mul_f32_e32 v52, v49, v58
	;; [unrolled: 1-line block ×4, first 2 shown]
	v_fmac_f32_e32 v14, v24, v40
	v_fmac_f32_e32 v16, v19, v46
	;; [unrolled: 1-line block ×6, first 2 shown]
	v_sub_f32_e32 v25, v14, v16
	v_sub_f32_e32 v8, v39, v52
	;; [unrolled: 1-line block ×5, first 2 shown]
	v_add_f32_e32 v8, v8, v78
	v_add_f32_e32 v81, v25, v8
	v_mul_f32_e32 v8, v19, v47
	v_fma_f32 v19, v46, v70, -v8
	v_mul_f32_e32 v8, v24, v41
	v_fma_f32 v40, v40, v54, -v8
	;; [unrolled: 2-line block ×4, first 2 shown]
	v_mul_u32_u24_e32 v8, 6, v0
	v_fmac_f32_e32 v67, 0xbee1c552, v29
	v_fmac_f32_e32 v30, 0xbee1c552, v29
	v_lshlrev_b32_e32 v8, 3, v8
	v_add_f32_e32 v38, v67, v32
	v_sub_f32_e32 v37, v34, v27
	v_add_f32_e32 v56, v30, v33
	v_sub_f32_e32 v66, v33, v30
	v_sub_f32_e32 v68, v32, v67
	v_add_f32_e32 v67, v27, v34
	global_load_dwordx4 v[21:24], v8, s[8:9] offset:1328
	global_load_dwordx4 v[31:34], v8, s[8:9] offset:1344
	global_load_dwordx4 v[27:30], v8, s[8:9] offset:1360
	v_mul_f32_e32 v20, v20, v45
	v_mul_f32_e32 v7, v7, v43
	v_fma_f32 v44, v44, v62, -v20
	v_fma_f32 v42, v42, v74, -v7
	v_add_f32_e32 v11, v47, v46
	v_add_f32_e32 v43, v42, v44
	v_sub_f32_e32 v7, v11, v43
	v_mul_f32_e32 v45, 0x3d64c772, v7
	ds_read2_b32 v[7:8], v1 offset1:56
	v_add_f32_e32 v41, v40, v19
	v_mul_f32_e32 v79, 0x3f08b237, v12
	v_sub_f32_e32 v12, v41, v11
	v_mov_b32_e32 v1, v45
	v_mul_f32_e32 v48, 0x3f4a47b2, v12
	v_fmac_f32_e32 v1, 0x3f4a47b2, v12
	v_add_f32_e32 v12, v41, v43
	v_add_f32_e32 v11, v11, v12
	s_waitcnt lgkmcnt(0)
	v_add_f32_e32 v12, v8, v11
	v_mov_b32_e32 v8, v12
	v_fmac_f32_e32 v8, 0xbf955555, v11
	v_add_f32_e32 v11, v39, v52
	v_add_f32_e32 v49, v76, v77
	v_sub_f32_e32 v50, v11, v49
	v_add_f32_e32 v14, v14, v16
	v_mul_f32_e32 v50, 0x3d64c772, v50
	v_sub_f32_e32 v16, v14, v11
	v_mov_b32_e32 v51, v50
	v_mul_f32_e32 v39, 0x3f4a47b2, v16
	v_fmac_f32_e32 v51, 0x3f4a47b2, v16
	v_add_f32_e32 v16, v14, v49
	v_add_f32_e32 v16, v11, v16
	;; [unrolled: 1-line block ×3, first 2 shown]
	v_mov_b32_e32 v5, v11
	v_fmac_f32_e32 v5, 0xbf955555, v16
	v_add_f32_e32 v16, v51, v5
	v_sub_f32_e32 v51, v40, v19
	v_sub_f32_e32 v19, v47, v46
	;; [unrolled: 1-line block ×5, first 2 shown]
	v_mul_f32_e32 v44, 0x3f08b237, v40
	v_sub_f32_e32 v25, v78, v25
	v_sub_f32_e32 v41, v43, v41
	v_fma_f32 v39, v14, s6, -v39
	v_sub_f32_e32 v43, v42, v51
	v_mov_b32_e32 v80, v79
	v_sub_f32_e32 v46, v51, v19
	v_mov_b32_e32 v47, v44
	v_add_f32_e32 v19, v19, v42
	v_mul_f32_e32 v40, 0xbf5ff5aa, v25
	v_add_f32_e32 v49, v39, v5
	v_mul_f32_e32 v39, 0xbf5ff5aa, v43
	v_fmac_f32_e32 v80, 0xbeae86e6, v75
	v_fmac_f32_e32 v47, 0xbeae86e6, v46
	v_add_f32_e32 v52, v51, v19
	v_fma_f32 v54, v75, s7, -v40
	v_fma_f32 v40, v41, s6, -v48
	;; [unrolled: 1-line block ×5, first 2 shown]
	v_fmac_f32_e32 v80, 0xbee1c552, v81
	v_add_f32_e32 v1, v1, v8
	v_fmac_f32_e32 v47, 0xbee1c552, v52
	v_fmac_f32_e32 v54, 0xbee1c552, v81
	v_add_f32_e32 v48, v40, v8
	v_fmac_f32_e32 v51, 0xbee1c552, v52
	v_add_f32_e32 v8, v41, v8
	;; [unrolled: 2-line block ×3, first 2 shown]
	v_sub_f32_e32 v19, v16, v47
	v_add_f32_e32 v40, v54, v48
	v_sub_f32_e32 v39, v49, v51
	v_sub_f32_e32 v42, v8, v25
	v_fma_f32 v43, v43, s4, -v44
	v_fma_f32 v14, v14, s5, -v50
	v_add_f32_e32 v44, v25, v8
	v_sub_f32_e32 v46, v48, v54
	v_add_f32_e32 v45, v51, v49
	v_sub_f32_e32 v48, v1, v80
	v_add_f32_e32 v47, v47, v16
	s_waitcnt vmcnt(2)
	v_mul_f32_e32 v1, v22, v53
	s_waitcnt vmcnt(0)
	v_mul_f32_e32 v8, v30, v69
	v_mul_f32_e32 v16, v34, v71
	;; [unrolled: 1-line block ×5, first 2 shown]
	v_fmac_f32_e32 v43, 0xbee1c552, v52
	v_add_f32_e32 v5, v14, v5
	v_fmac_f32_e32 v1, v15, v21
	v_fmac_f32_e32 v8, v18, v29
	;; [unrolled: 1-line block ×6, first 2 shown]
	v_add_f32_e32 v41, v43, v5
	v_sub_f32_e32 v43, v5, v43
	v_sub_f32_e32 v14, v1, v8
	;; [unrolled: 1-line block ×6, first 2 shown]
	v_add_f32_e32 v5, v5, v52
	v_add_f32_e32 v62, v14, v5
	v_mul_f32_e32 v5, v18, v30
	v_fma_f32 v18, v29, v69, -v5
	v_mul_f32_e32 v5, v15, v22
	v_fma_f32 v15, v21, v53, -v5
	;; [unrolled: 2-line block ×3, first 2 shown]
	v_mul_f32_e32 v5, v10, v34
	v_mul_f32_e32 v9, v9, v28
	;; [unrolled: 1-line block ×3, first 2 shown]
	v_fma_f32 v10, v33, v71, -v5
	v_fma_f32 v9, v27, v57, -v9
	;; [unrolled: 1-line block ×3, first 2 shown]
	v_add_f32_e32 v5, v10, v13
	v_add_f32_e32 v23, v6, v9
	v_sub_f32_e32 v24, v5, v23
	v_add_f32_e32 v21, v15, v18
	v_mul_f32_e32 v24, 0x3d64c772, v24
	v_sub_f32_e32 v22, v21, v5
	v_mov_b32_e32 v27, v24
	v_mul_f32_e32 v29, 0x3f4a47b2, v22
	v_fmac_f32_e32 v27, 0x3f4a47b2, v22
	v_add_f32_e32 v22, v21, v23
	v_add_f32_e32 v1, v1, v8
	;; [unrolled: 1-line block ×5, first 2 shown]
	v_sub_f32_e32 v30, v8, v25
	v_add_f32_e32 v5, v7, v22
	v_mul_f32_e32 v30, 0x3d64c772, v30
	v_mov_b32_e32 v28, v5
	v_sub_f32_e32 v16, v1, v8
	v_mov_b32_e32 v31, v30
	v_fmac_f32_e32 v28, 0xbf955555, v22
	v_mul_f32_e32 v22, 0x3f4a47b2, v16
	v_fmac_f32_e32 v31, 0x3f4a47b2, v16
	v_add_f32_e32 v16, v1, v25
	v_add_f32_e32 v8, v8, v16
	;; [unrolled: 1-line block ×3, first 2 shown]
	v_mov_b32_e32 v16, v4
	v_fmac_f32_e32 v16, 0xbf955555, v8
	v_sub_f32_e32 v8, v15, v18
	v_sub_f32_e32 v10, v10, v13
	;; [unrolled: 1-line block ×4, first 2 shown]
	v_mul_f32_e32 v18, 0x3f08b237, v6
	v_add_f32_e32 v6, v10, v15
	v_sub_f32_e32 v14, v52, v14
	v_sub_f32_e32 v1, v25, v1
	;; [unrolled: 1-line block ×4, first 2 shown]
	v_mov_b32_e32 v32, v18
	v_add_f32_e32 v10, v8, v6
	v_mul_f32_e32 v9, 0xbf5ff5aa, v14
	v_sub_f32_e32 v21, v23, v21
	v_fma_f32 v22, v1, s6, -v22
	v_mul_f32_e32 v8, 0xbf5ff5aa, v15
	v_fma_f32 v15, v15, s4, -v18
	v_fma_f32 v1, v1, s5, -v30
	v_fmac_f32_e32 v32, 0xbeae86e6, v13
	v_fma_f32 v33, v49, s7, -v9
	v_fma_f32 v9, v21, s6, -v29
	;; [unrolled: 1-line block ×4, first 2 shown]
	v_fmac_f32_e32 v15, 0xbee1c552, v10
	v_add_f32_e32 v1, v1, v16
	v_add_f32_e32 v21, v13, v28
	;; [unrolled: 1-line block ×3, first 2 shown]
	v_sub_f32_e32 v15, v1, v15
	v_mov_b32_e32 v1, v17
	v_fmac_f32_e32 v32, 0xbee1c552, v10
	v_fmac_f32_e32 v29, 0xbee1c552, v10
	v_mov_b32_e32 v10, s3
	v_add_co_u32_e32 v18, vcc, s2, v2
	v_lshlrev_b64 v[1:2], 3, v[0:1]
	v_mul_f32_e32 v54, 0x3f08b237, v54
	v_addc_co_u32_e32 v10, vcc, v10, v3, vcc
	v_mov_b32_e32 v58, v54
	v_add_f32_e32 v25, v22, v16
	v_fma_f32 v22, v14, s4, -v54
	v_add_co_u32_e32 v1, vcc, v18, v1
	v_fmac_f32_e32 v58, 0xbeae86e6, v49
	v_fmac_f32_e32 v22, 0xbee1c552, v62
	v_addc_co_u32_e32 v2, vcc, v10, v2, vcc
	v_fmac_f32_e32 v58, 0xbee1c552, v62
	v_add_f32_e32 v27, v27, v28
	v_add_f32_e32 v31, v31, v16
	v_fmac_f32_e32 v33, 0xbee1c552, v62
	v_add_f32_e32 v23, v9, v28
	v_add_f32_e32 v16, v22, v21
	v_add_co_u32_e32 v3, vcc, s0, v1
	v_add_f32_e32 v9, v33, v23
	v_sub_f32_e32 v14, v21, v22
	v_sub_f32_e32 v22, v23, v33
	v_add_f32_e32 v21, v29, v25
	v_sub_f32_e32 v24, v27, v58
	v_add_f32_e32 v23, v32, v31
	global_store_dwordx2 v[1:2], v[4:5], off
	global_store_dwordx2 v[1:2], v[23:24], off offset:1344
	global_store_dwordx2 v[1:2], v[21:22], off offset:2688
	;; [unrolled: 1-line block ×3, first 2 shown]
	v_addc_co_u32_e32 v4, vcc, 0, v2, vcc
	v_or_b32_e32 v16, 0x380, v0
	v_add_f32_e32 v7, v58, v27
	v_sub_f32_e32 v6, v31, v32
	v_sub_f32_e32 v8, v25, v29
	global_store_dwordx2 v[3:4], v[13:14], off offset:1280
	global_store_dwordx2 v[3:4], v[8:9], off offset:2624
	;; [unrolled: 1-line block ×8, first 2 shown]
	v_lshlrev_b64 v[3:4], 3, v[16:17]
	s_movk_i32 s0, 0x380
	v_add_co_u32_e32 v3, vcc, v18, v3
	v_addc_co_u32_e32 v4, vcc, v10, v4, vcc
	global_store_dwordx2 v[3:4], v[39:40], off
	v_add_co_u32_e32 v3, vcc, s1, v1
	s_mov_b32 s1, 0x18618619
	v_mul_hi_u32 v0, v26, s1
	v_addc_co_u32_e32 v4, vcc, 0, v2, vcc
	global_store_dwordx2 v[3:4], v[19:20], off offset:320
	v_lshrrev_b32_e32 v0, 1, v0
	v_mul_u32_u24_e32 v16, 0x3f0, v0
	v_lshlrev_b64 v[3:4], 3, v[16:17]
	v_add_co_u32_e32 v0, vcc, v1, v3
	v_addc_co_u32_e32 v1, vcc, v2, v4, vcc
	v_add_co_u32_e32 v2, vcc, s0, v0
	v_addc_co_u32_e32 v3, vcc, 0, v1, vcc
	global_store_dwordx2 v[0:1], v[35:36], off offset:896
	global_store_dwordx2 v[0:1], v[67:68], off offset:2240
	;; [unrolled: 1-line block ×4, first 2 shown]
	v_add_co_u32_e32 v2, vcc, 0x1000, v0
	v_addc_co_u32_e32 v3, vcc, 0, v1, vcc
	v_add_co_u32_e32 v0, vcc, 0x2000, v0
	v_addc_co_u32_e32 v1, vcc, 0, v1, vcc
	global_store_dwordx2 v[2:3], v[59:60], off offset:2176
	global_store_dwordx2 v[2:3], v[55:56], off offset:3520
	global_store_dwordx2 v[0:1], v[37:38], off offset:768
.LBB0_37:
	s_endpgm
	.section	.rodata,"a",@progbits
	.p2align	6, 0x0
	.amdhsa_kernel fft_rtc_back_len1176_factors_2_2_2_3_7_7_wgs_56_tpt_56_halfLds_sp_ip_CI_unitstride_sbrr_dirReg
		.amdhsa_group_segment_fixed_size 0
		.amdhsa_private_segment_fixed_size 0
		.amdhsa_kernarg_size 88
		.amdhsa_user_sgpr_count 6
		.amdhsa_user_sgpr_private_segment_buffer 1
		.amdhsa_user_sgpr_dispatch_ptr 0
		.amdhsa_user_sgpr_queue_ptr 0
		.amdhsa_user_sgpr_kernarg_segment_ptr 1
		.amdhsa_user_sgpr_dispatch_id 0
		.amdhsa_user_sgpr_flat_scratch_init 0
		.amdhsa_user_sgpr_private_segment_size 0
		.amdhsa_uses_dynamic_stack 0
		.amdhsa_system_sgpr_private_segment_wavefront_offset 0
		.amdhsa_system_sgpr_workgroup_id_x 1
		.amdhsa_system_sgpr_workgroup_id_y 0
		.amdhsa_system_sgpr_workgroup_id_z 0
		.amdhsa_system_sgpr_workgroup_info 0
		.amdhsa_system_vgpr_workitem_id 0
		.amdhsa_next_free_vgpr 96
		.amdhsa_next_free_sgpr 22
		.amdhsa_reserve_vcc 1
		.amdhsa_reserve_flat_scratch 0
		.amdhsa_float_round_mode_32 0
		.amdhsa_float_round_mode_16_64 0
		.amdhsa_float_denorm_mode_32 3
		.amdhsa_float_denorm_mode_16_64 3
		.amdhsa_dx10_clamp 1
		.amdhsa_ieee_mode 1
		.amdhsa_fp16_overflow 0
		.amdhsa_exception_fp_ieee_invalid_op 0
		.amdhsa_exception_fp_denorm_src 0
		.amdhsa_exception_fp_ieee_div_zero 0
		.amdhsa_exception_fp_ieee_overflow 0
		.amdhsa_exception_fp_ieee_underflow 0
		.amdhsa_exception_fp_ieee_inexact 0
		.amdhsa_exception_int_div_zero 0
	.end_amdhsa_kernel
	.text
.Lfunc_end0:
	.size	fft_rtc_back_len1176_factors_2_2_2_3_7_7_wgs_56_tpt_56_halfLds_sp_ip_CI_unitstride_sbrr_dirReg, .Lfunc_end0-fft_rtc_back_len1176_factors_2_2_2_3_7_7_wgs_56_tpt_56_halfLds_sp_ip_CI_unitstride_sbrr_dirReg
                                        ; -- End function
	.section	.AMDGPU.csdata,"",@progbits
; Kernel info:
; codeLenInByte = 11136
; NumSgprs: 26
; NumVgprs: 96
; ScratchSize: 0
; MemoryBound: 0
; FloatMode: 240
; IeeeMode: 1
; LDSByteSize: 0 bytes/workgroup (compile time only)
; SGPRBlocks: 3
; VGPRBlocks: 23
; NumSGPRsForWavesPerEU: 26
; NumVGPRsForWavesPerEU: 96
; Occupancy: 2
; WaveLimiterHint : 1
; COMPUTE_PGM_RSRC2:SCRATCH_EN: 0
; COMPUTE_PGM_RSRC2:USER_SGPR: 6
; COMPUTE_PGM_RSRC2:TRAP_HANDLER: 0
; COMPUTE_PGM_RSRC2:TGID_X_EN: 1
; COMPUTE_PGM_RSRC2:TGID_Y_EN: 0
; COMPUTE_PGM_RSRC2:TGID_Z_EN: 0
; COMPUTE_PGM_RSRC2:TIDIG_COMP_CNT: 0
	.type	__hip_cuid_fa8850951751eda3,@object ; @__hip_cuid_fa8850951751eda3
	.section	.bss,"aw",@nobits
	.globl	__hip_cuid_fa8850951751eda3
__hip_cuid_fa8850951751eda3:
	.byte	0                               ; 0x0
	.size	__hip_cuid_fa8850951751eda3, 1

	.ident	"AMD clang version 19.0.0git (https://github.com/RadeonOpenCompute/llvm-project roc-6.4.0 25133 c7fe45cf4b819c5991fe208aaa96edf142730f1d)"
	.section	".note.GNU-stack","",@progbits
	.addrsig
	.addrsig_sym __hip_cuid_fa8850951751eda3
	.amdgpu_metadata
---
amdhsa.kernels:
  - .args:
      - .actual_access:  read_only
        .address_space:  global
        .offset:         0
        .size:           8
        .value_kind:     global_buffer
      - .offset:         8
        .size:           8
        .value_kind:     by_value
      - .actual_access:  read_only
        .address_space:  global
        .offset:         16
        .size:           8
        .value_kind:     global_buffer
      - .actual_access:  read_only
        .address_space:  global
        .offset:         24
        .size:           8
        .value_kind:     global_buffer
      - .offset:         32
        .size:           8
        .value_kind:     by_value
      - .actual_access:  read_only
        .address_space:  global
        .offset:         40
        .size:           8
        .value_kind:     global_buffer
      - .actual_access:  read_only
        .address_space:  global
        .offset:         48
        .size:           8
        .value_kind:     global_buffer
      - .offset:         56
        .size:           4
        .value_kind:     by_value
      - .actual_access:  read_only
        .address_space:  global
        .offset:         64
        .size:           8
        .value_kind:     global_buffer
      - .actual_access:  read_only
        .address_space:  global
        .offset:         72
        .size:           8
        .value_kind:     global_buffer
      - .address_space:  global
        .offset:         80
        .size:           8
        .value_kind:     global_buffer
    .group_segment_fixed_size: 0
    .kernarg_segment_align: 8
    .kernarg_segment_size: 88
    .language:       OpenCL C
    .language_version:
      - 2
      - 0
    .max_flat_workgroup_size: 56
    .name:           fft_rtc_back_len1176_factors_2_2_2_3_7_7_wgs_56_tpt_56_halfLds_sp_ip_CI_unitstride_sbrr_dirReg
    .private_segment_fixed_size: 0
    .sgpr_count:     26
    .sgpr_spill_count: 0
    .symbol:         fft_rtc_back_len1176_factors_2_2_2_3_7_7_wgs_56_tpt_56_halfLds_sp_ip_CI_unitstride_sbrr_dirReg.kd
    .uniform_work_group_size: 1
    .uses_dynamic_stack: false
    .vgpr_count:     96
    .vgpr_spill_count: 0
    .wavefront_size: 64
amdhsa.target:   amdgcn-amd-amdhsa--gfx906
amdhsa.version:
  - 1
  - 2
...

	.end_amdgpu_metadata
